;; amdgpu-corpus repo=ROCm/rocFFT kind=compiled arch=gfx906 opt=O3
	.text
	.amdgcn_target "amdgcn-amd-amdhsa--gfx906"
	.amdhsa_code_object_version 6
	.protected	bluestein_single_fwd_len96_dim1_dp_op_CI_CI ; -- Begin function bluestein_single_fwd_len96_dim1_dp_op_CI_CI
	.globl	bluestein_single_fwd_len96_dim1_dp_op_CI_CI
	.p2align	8
	.type	bluestein_single_fwd_len96_dim1_dp_op_CI_CI,@function
bluestein_single_fwd_len96_dim1_dp_op_CI_CI: ; @bluestein_single_fwd_len96_dim1_dp_op_CI_CI
; %bb.0:
	s_load_dwordx4 s[16:19], s[4:5], 0x28
	v_lshrrev_b32_e32 v24, 4, v0
	v_lshl_or_b32 v148, s6, 3, v24
	v_mov_b32_e32 v149, 0
	s_waitcnt lgkmcnt(0)
	v_cmp_gt_u64_e32 vcc, s[16:17], v[148:149]
	s_and_saveexec_b64 s[0:1], vcc
	s_cbranch_execz .LBB0_10
; %bb.1:
	s_load_dwordx4 s[0:3], s[4:5], 0x18
	s_load_dwordx4 s[8:11], s[4:5], 0x0
	v_and_b32_e32 v151, 15, v0
	v_lshlrev_b32_e32 v154, 4, v151
	v_mul_u32_u24_e32 v156, 0x60, v24
	s_waitcnt lgkmcnt(0)
	s_load_dwordx4 s[12:15], s[0:1], 0x0
	v_or_b32_e32 v24, v156, v151
	v_lshlrev_b32_e32 v153, 4, v24
	v_lshl_or_b32 v152, v156, 4, v154
	s_mov_b32 s6, 0xe8584caa
	s_waitcnt lgkmcnt(0)
	v_mad_u64_u32 v[0:1], s[0:1], s14, v148, 0
	v_mad_u64_u32 v[2:3], s[0:1], s12, v151, 0
	s_mov_b32 s7, 0x3febb67a
	s_load_dwordx2 s[4:5], s[4:5], 0x38
	v_mad_u64_u32 v[4:5], s[0:1], s15, v148, v[1:2]
                                        ; implicit-def: $vgpr108_vgpr109
                                        ; implicit-def: $vgpr116_vgpr117
                                        ; implicit-def: $vgpr144_vgpr145
                                        ; implicit-def: $vgpr140_vgpr141
                                        ; implicit-def: $vgpr136_vgpr137
                                        ; implicit-def: $vgpr132_vgpr133
                                        ; implicit-def: $vgpr128_vgpr129
                                        ; implicit-def: $vgpr124_vgpr125
                                        ; implicit-def: $vgpr120_vgpr121
                                        ; implicit-def: $vgpr112_vgpr113
	v_mad_u64_u32 v[5:6], s[0:1], s13, v151, v[3:4]
	v_mov_b32_e32 v1, v4
	v_lshlrev_b64 v[0:1], 4, v[0:1]
	v_mov_b32_e32 v3, v5
	v_mov_b32_e32 v6, s19
	v_lshlrev_b64 v[2:3], 4, v[2:3]
	v_add_co_u32_e32 v0, vcc, s18, v0
	v_addc_co_u32_e32 v1, vcc, v6, v1, vcc
	v_add_co_u32_e32 v0, vcc, v0, v2
	v_addc_co_u32_e32 v1, vcc, v1, v3, vcc
	s_lshl_b64 s[0:1], s[12:13], 8
	global_load_dwordx4 v[25:28], v[0:1], off
	v_mov_b32_e32 v12, s1
	v_add_co_u32_e32 v0, vcc, s0, v0
	v_addc_co_u32_e32 v1, vcc, v1, v12, vcc
	v_add_co_u32_e32 v2, vcc, s0, v0
	v_addc_co_u32_e32 v3, vcc, v1, v12, vcc
	v_add_co_u32_e32 v8, vcc, s0, v2
	global_load_dwordx4 v[20:23], v154, s[8:9]
	global_load_dwordx4 v[16:19], v154, s[8:9] offset:256
	v_addc_co_u32_e32 v9, vcc, v3, v12, vcc
	global_load_dwordx4 v[29:32], v[0:1], off
	global_load_dwordx4 v[33:36], v[2:3], off
	v_add_co_u32_e32 v10, vcc, s0, v8
	global_load_dwordx4 v[4:7], v154, s[8:9] offset:512
	global_load_dwordx4 v[0:3], v154, s[8:9] offset:768
	v_addc_co_u32_e32 v11, vcc, v9, v12, vcc
	global_load_dwordx4 v[37:40], v[8:9], off
	global_load_dwordx4 v[41:44], v[10:11], off
	v_add_co_u32_e32 v49, vcc, s0, v10
	v_addc_co_u32_e32 v50, vcc, v11, v12, vcc
	global_load_dwordx4 v[8:11], v154, s[8:9] offset:1024
	global_load_dwordx4 v[12:15], v154, s[8:9] offset:1280
	global_load_dwordx4 v[45:48], v[49:50], off
	v_mul_u32_u24_e32 v49, 6, v151
	v_add_lshl_u32 v155, v156, v49, 4
	s_load_dwordx4 s[0:3], s[2:3], 0x0
	v_add_co_u32_e32 v149, vcc, s8, v154
	s_mov_b32 s13, 0xbfebb67a
	s_mov_b32 s12, s6
	s_waitcnt vmcnt(10)
	v_mul_f64 v[49:50], v[27:28], v[22:23]
	v_mul_f64 v[51:52], v[25:26], v[22:23]
	s_waitcnt vmcnt(8)
	v_mul_f64 v[53:54], v[31:32], v[18:19]
	v_mul_f64 v[55:56], v[29:30], v[18:19]
	s_waitcnt vmcnt(6)
	v_mul_f64 v[57:58], v[35:36], v[6:7]
	v_mul_f64 v[59:60], v[33:34], v[6:7]
	v_fma_f64 v[24:25], v[25:26], v[20:21], v[49:50]
	s_waitcnt vmcnt(4)
	v_mul_f64 v[61:62], v[39:40], v[2:3]
	v_mul_f64 v[63:64], v[37:38], v[2:3]
	v_fma_f64 v[26:27], v[27:28], v[20:21], -v[51:52]
	v_fma_f64 v[28:29], v[29:30], v[16:17], v[53:54]
	s_waitcnt vmcnt(2)
	v_mul_f64 v[65:66], v[43:44], v[10:11]
	v_mul_f64 v[67:68], v[41:42], v[10:11]
	s_waitcnt vmcnt(0)
	v_mul_f64 v[69:70], v[47:48], v[14:15]
	v_mul_f64 v[71:72], v[45:46], v[14:15]
	v_fma_f64 v[30:31], v[31:32], v[16:17], -v[55:56]
	v_fma_f64 v[32:33], v[33:34], v[4:5], v[57:58]
	v_fma_f64 v[34:35], v[35:36], v[4:5], -v[59:60]
	v_fma_f64 v[36:37], v[37:38], v[0:1], v[61:62]
	;; [unrolled: 2-line block ×4, first 2 shown]
	v_fma_f64 v[46:47], v[47:48], v[12:13], -v[71:72]
	ds_write_b128 v153, v[24:27]
	ds_write_b128 v153, v[28:31] offset:256
	ds_write_b128 v152, v[32:35] offset:512
	;; [unrolled: 1-line block ×5, first 2 shown]
	s_waitcnt lgkmcnt(0)
	s_barrier
	ds_read_b128 v[24:27], v152 offset:512
	ds_read_b128 v[28:31], v152 offset:768
	;; [unrolled: 1-line block ×4, first 2 shown]
	v_mov_b32_e32 v48, s9
	v_addc_co_u32_e32 v150, vcc, 0, v48, vcc
	ds_read_b128 v[40:43], v153
	ds_read_b128 v[44:47], v153 offset:256
	s_waitcnt lgkmcnt(2)
	v_add_f64 v[48:49], v[30:31], v[38:39]
	v_add_f64 v[50:51], v[28:29], v[36:37]
	v_add_f64 v[60:61], v[30:31], -v[38:39]
	v_add_f64 v[62:63], v[28:29], -v[36:37]
	s_waitcnt lgkmcnt(1)
	v_add_f64 v[52:53], v[40:41], v[24:25]
	v_add_f64 v[54:55], v[24:25], v[32:33]
	v_add_f64 v[56:57], v[26:27], -v[34:35]
	v_add_f64 v[58:59], v[42:43], v[26:27]
	s_waitcnt lgkmcnt(0)
	v_fma_f64 v[48:49], v[48:49], -0.5, v[46:47]
	v_fma_f64 v[50:51], v[50:51], -0.5, v[44:45]
	v_add_f64 v[26:27], v[26:27], v[34:35]
	v_add_f64 v[28:29], v[44:45], v[28:29]
	;; [unrolled: 1-line block ×3, first 2 shown]
	v_add_f64 v[24:25], v[24:25], -v[32:33]
	v_add_f64 v[32:33], v[52:53], v[32:33]
	v_fma_f64 v[40:41], v[54:55], -0.5, v[40:41]
	v_fma_f64 v[44:45], v[62:63], s[12:13], v[48:49]
	v_fma_f64 v[46:47], v[60:61], s[12:13], v[50:51]
	;; [unrolled: 1-line block ×4, first 2 shown]
	v_fma_f64 v[26:27], v[26:27], -0.5, v[42:43]
	v_add_f64 v[28:29], v[28:29], v[36:37]
	v_add_f64 v[30:31], v[30:31], v[38:39]
	;; [unrolled: 1-line block ×3, first 2 shown]
	v_mul_f64 v[36:37], v[44:45], s[6:7]
	v_mul_f64 v[38:39], v[46:47], -0.5
	v_mul_f64 v[42:43], v[50:51], s[12:13]
	v_mul_f64 v[52:53], v[48:49], -0.5
	v_fma_f64 v[54:55], v[56:57], s[6:7], v[40:41]
	v_fma_f64 v[40:41], v[56:57], s[12:13], v[40:41]
	;; [unrolled: 1-line block ×4, first 2 shown]
	v_fma_f64 v[26:27], v[50:51], 0.5, v[36:37]
	v_fma_f64 v[36:37], v[48:49], s[6:7], v[38:39]
	v_fma_f64 v[38:39], v[44:45], 0.5, v[42:43]
	v_fma_f64 v[42:43], v[46:47], s[12:13], v[52:53]
	v_add_f64 v[84:85], v[32:33], v[28:29]
	v_add_f64 v[86:87], v[34:35], v[30:31]
	v_add_f64 v[96:97], v[32:33], -v[28:29]
	v_add_f64 v[98:99], v[34:35], -v[30:31]
	v_add_f64 v[88:89], v[54:55], v[26:27]
	v_add_f64 v[92:93], v[40:41], v[36:37]
	;; [unrolled: 1-line block ×4, first 2 shown]
	v_add_f64 v[100:101], v[54:55], -v[26:27]
	v_add_f64 v[104:105], v[40:41], -v[36:37]
	v_add_f64 v[102:103], v[56:57], -v[38:39]
	v_add_f64 v[106:107], v[24:25], -v[42:43]
	v_cmp_gt_u32_e32 vcc, 6, v151
	s_barrier
	ds_write_b128 v155, v[84:87]
	ds_write_b128 v155, v[96:99] offset:48
	ds_write_b128 v155, v[88:91] offset:16
	;; [unrolled: 1-line block ×5, first 2 shown]
	s_waitcnt lgkmcnt(0)
	s_barrier
	s_and_saveexec_b64 s[6:7], vcc
	s_cbranch_execz .LBB0_3
; %bb.2:
	ds_read_b128 v[84:87], v153
	ds_read_b128 v[88:91], v153 offset:96
	ds_read_b128 v[92:95], v153 offset:192
	ds_read_b128 v[96:99], v153 offset:288
	ds_read_b128 v[100:103], v153 offset:384
	ds_read_b128 v[104:107], v153 offset:480
	ds_read_b128 v[108:111], v153 offset:576
	ds_read_b128 v[112:115], v153 offset:672
	ds_read_b128 v[120:123], v153 offset:768
	ds_read_b128 v[116:119], v153 offset:864
	ds_read_b128 v[124:127], v153 offset:960
	ds_read_b128 v[128:131], v153 offset:1056
	ds_read_b128 v[132:135], v153 offset:1152
	ds_read_b128 v[136:139], v153 offset:1248
	ds_read_b128 v[140:143], v153 offset:1344
	ds_read_b128 v[144:147], v153 offset:1440
.LBB0_3:
	s_or_b64 exec, exec, s[6:7]
	v_mul_lo_u16_e32 v24, 43, v151
	v_mov_b32_e32 v25, 6
	v_mul_lo_u16_sdwa v24, v24, v25 dst_sel:DWORD dst_unused:UNUSED_PAD src0_sel:BYTE_1 src1_sel:DWORD
	v_sub_u16_e32 v24, v151, v24
	v_mul_lo_u16_e32 v24, 15, v24
	v_mov_b32_e32 v25, 4
	v_lshlrev_b32_sdwa v76, v25, v24 dst_sel:DWORD dst_unused:UNUSED_PAD src0_sel:DWORD src1_sel:BYTE_0
	global_load_dwordx4 v[28:31], v76, s[10:11]
	global_load_dwordx4 v[40:43], v76, s[10:11] offset:16
	global_load_dwordx4 v[32:35], v76, s[10:11] offset:32
	;; [unrolled: 1-line block ×13, first 2 shown]
	s_nop 0
	global_load_dwordx4 v[76:79], v76, s[10:11] offset:224
	s_mov_b32 s6, 0x667f3bcd
	s_mov_b32 s7, 0xbfe6a09e
	;; [unrolled: 1-line block ×12, first 2 shown]
	s_waitcnt vmcnt(14) lgkmcnt(14)
	v_mul_f64 v[159:160], v[88:89], v[30:31]
	s_waitcnt vmcnt(13) lgkmcnt(13)
	v_mul_f64 v[163:164], v[92:93], v[42:43]
	;; [unrolled: 2-line block ×3, first 2 shown]
	v_mul_f64 v[167:168], v[96:97], v[34:35]
	s_waitcnt vmcnt(11) lgkmcnt(11)
	v_mul_f64 v[169:170], v[102:103], v[26:27]
	s_waitcnt vmcnt(10) lgkmcnt(10)
	;; [unrolled: 2-line block ×8, first 2 shown]
	v_mul_f64 v[197:198], v[130:131], v[58:59]
	v_mul_f64 v[199:200], v[128:129], v[58:59]
	s_waitcnt vmcnt(3) lgkmcnt(3)
	v_mul_f64 v[201:202], v[134:135], v[70:71]
	s_waitcnt vmcnt(2) lgkmcnt(2)
	;; [unrolled: 2-line block ×4, first 2 shown]
	v_mul_f64 v[213:214], v[146:147], v[78:79]
	v_mul_f64 v[157:158], v[90:91], v[30:31]
	;; [unrolled: 1-line block ×14, first 2 shown]
	v_fma_f64 v[90:91], v[90:91], v[28:29], v[159:160]
	v_fma_f64 v[94:95], v[94:95], v[40:41], v[163:164]
	v_fma_f64 v[96:97], v[96:97], v[32:33], -v[165:166]
	v_fma_f64 v[98:99], v[98:99], v[32:33], v[167:168]
	v_fma_f64 v[100:101], v[100:101], v[24:25], -v[169:170]
	v_fma_f64 v[104:105], v[104:105], v[44:45], -v[173:174]
	;; [unrolled: 1-line block ×4, first 2 shown]
	v_fma_f64 v[122:123], v[122:123], v[36:37], v[187:188]
	v_fma_f64 v[118:119], v[118:119], v[52:53], v[191:192]
	;; [unrolled: 1-line block ×3, first 2 shown]
	v_fma_f64 v[128:129], v[128:129], v[56:57], -v[197:198]
	v_fma_f64 v[130:131], v[130:131], v[56:57], v[199:200]
	v_fma_f64 v[132:133], v[132:133], v[68:69], -v[201:202]
	v_fma_f64 v[136:137], v[136:137], v[72:73], -v[205:206]
	;; [unrolled: 1-line block ×6, first 2 shown]
	v_fma_f64 v[102:103], v[102:103], v[24:25], v[171:172]
	v_fma_f64 v[106:107], v[106:107], v[44:45], v[175:176]
	v_fma_f64 v[110:111], v[110:111], v[60:61], v[179:180]
	v_fma_f64 v[114:115], v[114:115], v[48:49], v[183:184]
	v_fma_f64 v[120:121], v[120:121], v[36:37], -v[185:186]
	v_fma_f64 v[116:117], v[116:117], v[52:53], -v[189:190]
	;; [unrolled: 1-line block ×3, first 2 shown]
	v_fma_f64 v[134:135], v[134:135], v[68:69], v[203:204]
	v_fma_f64 v[138:139], v[138:139], v[72:73], v[207:208]
	;; [unrolled: 1-line block ×4, first 2 shown]
	v_add_f64 v[122:123], v[86:87], -v[122:123]
	v_add_f64 v[132:133], v[100:101], -v[132:133]
	;; [unrolled: 1-line block ×16, first 2 shown]
	v_add_f64 v[161:162], v[122:123], v[132:133]
	v_add_f64 v[136:137], v[126:127], v[140:141]
	;; [unrolled: 1-line block ×4, first 2 shown]
	v_add_f64 v[159:160], v[120:121], -v[134:135]
	v_add_f64 v[163:164], v[124:125], -v[142:143]
	;; [unrolled: 1-line block ×4, first 2 shown]
	v_fma_f64 v[175:176], v[122:123], 2.0, -v[161:162]
	v_fma_f64 v[179:180], v[126:127], 2.0, -v[136:137]
	;; [unrolled: 1-line block ×10, first 2 shown]
	v_fma_f64 v[102:103], v[179:180], s[6:7], v[175:176]
	v_fma_f64 v[189:190], v[185:186], s[6:7], v[187:188]
	v_fma_f64 v[108:109], v[108:109], 2.0, -v[140:141]
	v_fma_f64 v[110:111], v[110:111], 2.0, -v[142:143]
	;; [unrolled: 1-line block ×9, first 2 shown]
	v_fma_f64 v[100:101], v[177:178], s[6:7], v[173:174]
	v_fma_f64 v[132:133], v[183:184], s[6:7], v[181:182]
	v_fma_f64 v[92:93], v[92:93], 2.0, -v[124:125]
	v_fma_f64 v[94:95], v[94:95], 2.0, -v[126:127]
	v_fma_f64 v[134:135], v[177:178], s[10:11], v[102:103]
	v_fma_f64 v[102:103], v[183:184], s[10:11], v[189:190]
	v_fma_f64 v[90:91], v[90:91], 2.0, -v[118:119]
	v_fma_f64 v[104:105], v[106:107], 2.0, -v[138:139]
	;; [unrolled: 1-line block ×3, first 2 shown]
	v_add_f64 v[144:145], v[116:117], -v[88:89]
	v_add_f64 v[146:147], v[142:143], -v[96:97]
	v_fma_f64 v[88:89], v[136:137], s[10:11], v[161:162]
	v_fma_f64 v[96:97], v[169:170], s[10:11], v[171:172]
	;; [unrolled: 1-line block ×4, first 2 shown]
	v_fma_f64 v[128:129], v[175:176], 2.0, -v[134:135]
	v_fma_f64 v[118:119], v[187:188], 2.0, -v[102:103]
	v_add_f64 v[112:113], v[120:121], -v[84:85]
	v_add_f64 v[114:115], v[122:123], -v[86:87]
	;; [unrolled: 1-line block ×6, first 2 shown]
	v_fma_f64 v[84:85], v[163:164], s[10:11], v[159:160]
	v_fma_f64 v[86:87], v[167:168], s[10:11], v[165:166]
	v_fma_f64 v[163:164], v[163:164], s[10:11], v[88:89]
	v_fma_f64 v[167:168], v[167:168], s[10:11], v[96:97]
	v_fma_f64 v[126:127], v[173:174], 2.0, -v[124:125]
	v_fma_f64 v[106:107], v[181:182], 2.0, -v[100:101]
	v_add_f64 v[173:174], v[112:113], -v[110:111]
	v_add_f64 v[175:176], v[114:115], v[108:109]
	v_add_f64 v[177:178], v[144:145], -v[146:147]
	v_add_f64 v[179:180], v[104:105], v[157:158]
	v_fma_f64 v[181:182], v[136:137], s[6:7], v[84:85]
	v_fma_f64 v[169:170], v[169:170], s[6:7], v[86:87]
	;; [unrolled: 1-line block ×3, first 2 shown]
	v_fma_f64 v[138:139], v[161:162], 2.0, -v[163:164]
	v_fma_f64 v[161:162], v[171:172], 2.0, -v[167:168]
	;; [unrolled: 1-line block ×8, first 2 shown]
	v_fma_f64 v[84:85], v[106:107], s[12:13], v[126:127]
	v_fma_f64 v[86:87], v[106:107], s[16:17], v[86:87]
	;; [unrolled: 1-line block ×3, first 2 shown]
	v_fma_f64 v[112:113], v[120:121], 2.0, -v[112:113]
	v_fma_f64 v[114:115], v[122:123], 2.0, -v[114:115]
	;; [unrolled: 1-line block ×8, first 2 shown]
	v_fma_f64 v[88:89], v[98:99], s[6:7], v[130:131]
	v_fma_f64 v[171:172], v[159:160], s[14:15], v[132:133]
	;; [unrolled: 1-line block ×5, first 2 shown]
	v_add_f64 v[140:141], v[112:113], -v[92:93]
	v_add_f64 v[146:147], v[114:115], -v[94:95]
	;; [unrolled: 1-line block ×4, first 2 shown]
	v_fma_f64 v[110:111], v[177:178], s[10:11], v[173:174]
	v_fma_f64 v[116:117], v[179:180], s[10:11], v[175:176]
	;; [unrolled: 1-line block ×8, first 2 shown]
	v_fma_f64 v[142:143], v[112:113], 2.0, -v[140:141]
	v_fma_f64 v[144:145], v[114:115], 2.0, -v[146:147]
	;; [unrolled: 1-line block ×4, first 2 shown]
	v_fma_f64 v[114:115], v[100:101], s[18:19], v[118:119]
	v_fma_f64 v[120:121], v[179:180], s[6:7], v[110:111]
	v_fma_f64 v[122:123], v[177:178], s[10:11], v[116:117]
	v_fma_f64 v[116:117], v[167:168], s[14:15], v[157:158]
	v_fma_f64 v[118:119], v[169:170], s[16:17], v[159:160]
	v_fma_f64 v[98:99], v[98:99], s[10:11], v[165:166]
	v_fma_f64 v[112:113], v[102:103], s[12:13], v[106:107]
	v_add_f64 v[104:105], v[142:143], -v[108:109]
	v_add_f64 v[106:107], v[144:145], -v[161:162]
	;; [unrolled: 1-line block ×3, first 2 shown]
	v_add_f64 v[102:103], v[146:147], v[92:93]
	v_fma_f64 v[108:109], v[173:174], 2.0, -v[120:121]
	v_fma_f64 v[110:111], v[175:176], 2.0, -v[122:123]
	;; [unrolled: 1-line block ×4, first 2 shown]
	s_and_saveexec_b64 s[6:7], vcc
	s_cbranch_execz .LBB0_5
; %bb.4:
	v_fma_f64 v[163:164], v[144:145], 2.0, -v[106:107]
	v_fma_f64 v[161:162], v[142:143], 2.0, -v[104:105]
	;; [unrolled: 1-line block ×12, first 2 shown]
	ds_write_b128 v153, v[161:164]
	ds_write_b128 v153, v[126:129] offset:96
	ds_write_b128 v153, v[157:160] offset:192
	;; [unrolled: 1-line block ×15, first 2 shown]
.LBB0_5:
	s_or_b64 exec, exec, s[6:7]
	s_waitcnt lgkmcnt(0)
	s_barrier
	global_load_dwordx4 v[124:127], v[149:150], off offset:1536
	s_add_u32 s6, s8, 0x600
	s_addc_u32 s7, s9, 0
	global_load_dwordx4 v[128:131], v154, s[6:7] offset:256
	global_load_dwordx4 v[132:135], v154, s[6:7] offset:512
	global_load_dwordx4 v[136:139], v154, s[6:7] offset:768
	global_load_dwordx4 v[140:143], v154, s[6:7] offset:1024
	global_load_dwordx4 v[144:147], v154, s[6:7] offset:1280
	ds_read_b128 v[157:160], v153
	ds_read_b128 v[161:164], v153 offset:256
	s_mov_b32 s6, 0xe8584caa
	s_mov_b32 s7, 0xbfebb67a
	;; [unrolled: 1-line block ×4, first 2 shown]
	s_waitcnt vmcnt(4) lgkmcnt(0)
	v_mul_f64 v[165:166], v[163:164], v[130:131]
	v_mul_f64 v[149:150], v[159:160], v[126:127]
	;; [unrolled: 1-line block ×4, first 2 shown]
	v_fma_f64 v[157:158], v[157:158], v[124:125], -v[149:150]
	v_fma_f64 v[159:160], v[159:160], v[124:125], v[126:127]
	v_fma_f64 v[124:125], v[161:162], v[128:129], -v[165:166]
	v_fma_f64 v[126:127], v[163:164], v[128:129], v[130:131]
	v_lshl_add_u32 v149, v156, 4, v154
	ds_write_b128 v153, v[157:160]
	ds_write_b128 v153, v[124:127] offset:256
	ds_read_b128 v[124:127], v152 offset:512
	ds_read_b128 v[128:131], v149 offset:768
	;; [unrolled: 1-line block ×4, first 2 shown]
	s_waitcnt vmcnt(2) lgkmcnt(2)
	v_mul_f64 v[166:167], v[130:131], v[138:139]
	v_mul_f64 v[164:165], v[126:127], v[134:135]
	;; [unrolled: 1-line block ×4, first 2 shown]
	s_waitcnt vmcnt(1) lgkmcnt(1)
	v_mul_f64 v[168:169], v[158:159], v[142:143]
	v_mul_f64 v[142:143], v[156:157], v[142:143]
	s_waitcnt vmcnt(0) lgkmcnt(0)
	v_mul_f64 v[170:171], v[162:163], v[146:147]
	v_mul_f64 v[146:147], v[160:161], v[146:147]
	v_fma_f64 v[128:129], v[128:129], v[136:137], -v[166:167]
	v_fma_f64 v[124:125], v[124:125], v[132:133], -v[164:165]
	v_fma_f64 v[126:127], v[126:127], v[132:133], v[134:135]
	v_fma_f64 v[130:131], v[130:131], v[136:137], v[138:139]
	v_fma_f64 v[132:133], v[156:157], v[140:141], -v[168:169]
	v_fma_f64 v[134:135], v[158:159], v[140:141], v[142:143]
	v_fma_f64 v[136:137], v[160:161], v[144:145], -v[170:171]
	v_fma_f64 v[138:139], v[162:163], v[144:145], v[146:147]
	ds_write_b128 v152, v[124:127] offset:512
	ds_write_b128 v149, v[128:131] offset:768
	;; [unrolled: 1-line block ×4, first 2 shown]
	s_waitcnt lgkmcnt(0)
	s_barrier
	ds_read_b128 v[124:127], v153
	ds_read_b128 v[128:131], v149 offset:768
	ds_read_b128 v[132:135], v152 offset:1280
	;; [unrolled: 1-line block ×5, first 2 shown]
	s_waitcnt lgkmcnt(0)
	v_add_f64 v[156:157], v[130:131], v[134:135]
	v_add_f64 v[166:167], v[128:129], v[132:133]
	v_add_f64 v[168:169], v[128:129], -v[132:133]
	v_add_f64 v[160:161], v[136:137], v[140:141]
	v_add_f64 v[162:163], v[138:139], -v[142:143]
	v_add_f64 v[164:165], v[126:127], v[138:139]
	v_add_f64 v[138:139], v[138:139], v[142:143]
	;; [unrolled: 1-line block ×3, first 2 shown]
	v_fma_f64 v[156:157], v[156:157], -0.5, v[146:147]
	v_add_f64 v[170:171], v[130:131], -v[134:135]
	v_add_f64 v[130:131], v[146:147], v[130:131]
	v_fma_f64 v[144:145], v[166:167], -0.5, v[144:145]
	v_add_f64 v[158:159], v[124:125], v[136:137]
	v_add_f64 v[136:137], v[136:137], -v[140:141]
	v_fma_f64 v[124:125], v[160:161], -0.5, v[124:125]
	v_fma_f64 v[126:127], v[138:139], -0.5, v[126:127]
	v_fma_f64 v[146:147], v[168:169], s[8:9], v[156:157]
	v_fma_f64 v[156:157], v[168:169], s[6:7], v[156:157]
	v_add_f64 v[128:129], v[128:129], v[132:133]
	v_add_f64 v[130:131], v[130:131], v[134:135]
	v_fma_f64 v[132:133], v[170:171], s[6:7], v[144:145]
	v_fma_f64 v[134:135], v[170:171], s[8:9], v[144:145]
	v_add_f64 v[140:141], v[158:159], v[140:141]
	v_add_f64 v[142:143], v[164:165], v[142:143]
	v_mul_f64 v[138:139], v[146:147], s[6:7]
	v_mul_f64 v[144:145], v[156:157], s[6:7]
	v_mul_f64 v[146:147], v[146:147], 0.5
	v_mul_f64 v[156:157], v[156:157], -0.5
	v_fma_f64 v[158:159], v[162:163], s[6:7], v[124:125]
	v_fma_f64 v[160:161], v[162:163], s[8:9], v[124:125]
	;; [unrolled: 1-line block ×4, first 2 shown]
	v_fma_f64 v[166:167], v[132:133], 0.5, v[138:139]
	v_fma_f64 v[168:169], v[134:135], -0.5, v[144:145]
	v_fma_f64 v[170:171], v[132:133], s[8:9], v[146:147]
	v_fma_f64 v[156:157], v[134:135], s[8:9], v[156:157]
	v_add_f64 v[124:125], v[140:141], v[128:129]
	v_add_f64 v[126:127], v[142:143], v[130:131]
	v_add_f64 v[136:137], v[140:141], -v[128:129]
	v_add_f64 v[138:139], v[142:143], -v[130:131]
	v_add_f64 v[128:129], v[158:159], v[166:167]
	v_add_f64 v[144:145], v[160:161], v[168:169]
	;; [unrolled: 1-line block ×4, first 2 shown]
	v_add_f64 v[132:133], v[158:159], -v[166:167]
	v_add_f64 v[140:141], v[160:161], -v[168:169]
	;; [unrolled: 1-line block ×4, first 2 shown]
	s_barrier
	ds_write_b128 v155, v[124:127]
	ds_write_b128 v155, v[136:139] offset:48
	ds_write_b128 v155, v[128:131] offset:16
	;; [unrolled: 1-line block ×5, first 2 shown]
	s_waitcnt lgkmcnt(0)
	s_barrier
	s_and_saveexec_b64 s[6:7], vcc
	s_cbranch_execz .LBB0_7
; %bb.6:
	ds_read_b128 v[124:127], v153
	ds_read_b128 v[128:131], v153 offset:96
	ds_read_b128 v[144:147], v153 offset:192
	;; [unrolled: 1-line block ×15, first 2 shown]
.LBB0_7:
	s_or_b64 exec, exec, s[6:7]
	s_and_saveexec_b64 s[6:7], vcc
	s_cbranch_execz .LBB0_9
; %bb.8:
	s_waitcnt lgkmcnt(13)
	v_mul_f64 v[154:155], v[42:43], v[144:145]
	s_waitcnt lgkmcnt(6)
	v_mul_f64 v[156:157], v[66:67], v[96:97]
	v_mul_f64 v[158:159], v[62:63], v[110:111]
	s_waitcnt lgkmcnt(2)
	v_mul_f64 v[160:161], v[82:83], v[122:123]
	s_waitcnt lgkmcnt(1)
	v_mul_f64 v[162:163], v[38:39], v[104:105]
	v_mul_f64 v[164:165], v[26:27], v[134:135]
	;; [unrolled: 1-line block ×4, first 2 shown]
	v_fma_f64 v[154:155], v[40:41], v[146:147], -v[154:155]
	v_fma_f64 v[156:157], v[64:65], v[98:99], -v[156:157]
	v_fma_f64 v[158:159], v[60:61], v[108:109], v[158:159]
	v_fma_f64 v[160:161], v[80:81], v[120:121], v[160:161]
	v_fma_f64 v[162:163], v[36:37], v[106:107], -v[162:163]
	v_fma_f64 v[164:165], v[24:25], v[132:133], v[164:165]
	v_fma_f64 v[166:167], v[68:69], v[100:101], v[166:167]
	v_mul_f64 v[82:83], v[82:83], v[120:121]
	v_mul_f64 v[168:169], v[50:51], v[94:95]
	v_add_f64 v[108:109], v[154:155], -v[156:157]
	s_waitcnt lgkmcnt(0)
	v_mul_f64 v[170:171], v[78:79], v[118:119]
	v_add_f64 v[156:157], v[158:159], -v[160:161]
	v_add_f64 v[120:121], v[126:127], -v[162:163]
	v_mul_f64 v[162:163], v[34:35], v[136:137]
	v_add_f64 v[160:161], v[164:165], -v[166:167]
	v_mul_f64 v[166:167], v[58:59], v[88:89]
	v_fma_f64 v[60:61], v[60:61], v[110:111], -v[62:63]
	v_fma_f64 v[62:63], v[80:81], v[122:123], -v[82:83]
	v_mul_f64 v[42:43], v[42:43], v[146:147]
	v_mul_f64 v[66:67], v[66:67], v[98:99]
	v_fma_f64 v[98:99], v[48:49], v[92:93], v[168:169]
	v_fma_f64 v[80:81], v[32:33], v[138:139], -v[162:163]
	v_fma_f64 v[110:111], v[76:77], v[116:117], v[170:171]
	v_fma_f64 v[82:83], v[56:57], v[90:91], -v[166:167]
	v_mul_f64 v[122:123], v[30:31], v[128:129]
	v_mul_f64 v[146:147], v[54:55], v[84:85]
	;; [unrolled: 1-line block ×4, first 2 shown]
	v_fma_f64 v[40:41], v[40:41], v[144:145], v[42:43]
	v_fma_f64 v[42:43], v[64:65], v[96:97], v[66:67]
	v_add_f64 v[66:67], v[98:99], -v[110:111]
	v_add_f64 v[64:65], v[80:81], -v[82:83]
	v_fma_f64 v[82:83], v[28:29], v[130:131], -v[122:123]
	v_fma_f64 v[96:97], v[52:53], v[86:87], -v[146:147]
	v_fma_f64 v[110:111], v[44:45], v[140:141], v[162:163]
	v_fma_f64 v[122:123], v[72:73], v[112:113], v[166:167]
	v_mul_f64 v[50:51], v[50:51], v[92:93]
	v_mul_f64 v[78:79], v[78:79], v[116:117]
	;; [unrolled: 1-line block ×8, first 2 shown]
	v_add_f64 v[96:97], v[82:83], -v[96:97]
	v_add_f64 v[122:123], v[110:111], -v[122:123]
	v_fma_f64 v[48:49], v[48:49], v[94:95], -v[50:51]
	v_fma_f64 v[50:51], v[76:77], v[118:119], -v[78:79]
	v_fma_f64 v[32:33], v[32:33], v[136:137], v[34:35]
	v_fma_f64 v[34:35], v[56:57], v[88:89], v[58:59]
	v_fma_f64 v[44:45], v[44:45], v[142:143], -v[46:47]
	v_fma_f64 v[46:47], v[72:73], v[114:115], -v[74:75]
	v_fma_f64 v[28:29], v[28:29], v[128:129], v[30:31]
	v_fma_f64 v[30:31], v[52:53], v[84:85], v[54:55]
	v_add_f64 v[144:145], v[108:109], -v[156:157]
	v_add_f64 v[146:147], v[120:121], -v[160:161]
	;; [unrolled: 1-line block ×5, first 2 shown]
	v_mul_f64 v[26:27], v[26:27], v[132:133]
	v_mul_f64 v[52:53], v[70:71], v[100:101]
	;; [unrolled: 1-line block ×3, first 2 shown]
	v_add_f64 v[54:55], v[96:97], -v[122:123]
	v_add_f64 v[50:51], v[48:49], -v[50:51]
	;; [unrolled: 1-line block ×5, first 2 shown]
	s_mov_b32 s8, 0x667f3bcd
	s_mov_b32 s9, 0x3fe6a09e
	v_fma_f64 v[24:25], v[24:25], v[134:135], -v[26:27]
	v_fma_f64 v[26:27], v[68:69], v[102:103], -v[52:53]
	v_fma_f64 v[30:31], v[36:37], v[104:105], v[38:39]
	v_fma_f64 v[36:37], v[144:145], s[8:9], v[146:147]
	v_add_f64 v[38:39], v[62:63], v[42:43]
	v_fma_f64 v[52:53], v[162:163], s[8:9], v[54:55]
	v_add_f64 v[58:59], v[50:51], v[34:35]
	v_add_f64 v[68:69], v[46:47], v[56:57]
	s_mov_b32 s11, 0xbfe6a09e
	s_mov_b32 s10, s8
	v_add_f64 v[26:27], v[24:25], -v[26:27]
	v_add_f64 v[70:71], v[124:125], -v[30:31]
	v_fma_f64 v[36:37], v[38:39], s[10:11], v[36:37]
	s_mov_b32 s12, 0xcf328d46
	v_fma_f64 v[52:53], v[58:59], s[10:11], v[52:53]
	v_fma_f64 v[30:31], v[58:59], s[8:9], v[68:69]
	s_mov_b32 s13, 0x3fed906b
	v_fma_f64 v[78:79], v[126:127], 2.0, -v[120:121]
	v_fma_f64 v[24:25], v[24:25], 2.0, -v[26:27]
	;; [unrolled: 1-line block ×5, first 2 shown]
	v_fma_f64 v[74:75], v[52:53], s[12:13], v[36:37]
	v_fma_f64 v[76:77], v[162:163], s[8:9], v[30:31]
	v_fma_f64 v[44:45], v[44:45], 2.0, -v[46:47]
	v_fma_f64 v[32:33], v[32:33], 2.0, -v[34:35]
	;; [unrolled: 1-line block ×3, first 2 shown]
	v_add_f64 v[72:73], v[70:71], v[26:27]
	v_add_f64 v[66:67], v[78:79], -v[24:25]
	v_add_f64 v[24:25], v[40:41], -v[84:85]
	v_fma_f64 v[48:49], v[48:49], 2.0, -v[50:51]
	v_fma_f64 v[26:27], v[76:77], s[14:15], v[74:75]
	v_add_f64 v[44:45], v[82:83], -v[44:45]
	v_fma_f64 v[74:75], v[80:81], 2.0, -v[64:65]
	v_add_f64 v[46:47], v[32:33], -v[46:47]
	v_fma_f64 v[28:29], v[28:29], 2.0, -v[56:57]
	v_fma_f64 v[80:81], v[110:111], 2.0, -v[122:123]
	;; [unrolled: 1-line block ×10, first 2 shown]
	v_fma_f64 v[30:31], v[38:39], s[8:9], v[72:73]
	v_add_f64 v[84:85], v[66:67], -v[24:25]
	v_add_f64 v[86:87], v[44:45], -v[46:47]
	;; [unrolled: 1-line block ×4, first 2 shown]
	v_fma_f64 v[100:101], v[92:93], s[10:11], v[90:91]
	v_fma_f64 v[38:39], v[42:43], 2.0, -v[38:39]
	v_fma_f64 v[42:43], v[64:65], s[10:11], v[94:95]
	v_fma_f64 v[34:35], v[34:35], 2.0, -v[58:59]
	v_fma_f64 v[56:57], v[56:57], 2.0, -v[68:69]
	;; [unrolled: 1-line block ×3, first 2 shown]
	v_add_f64 v[60:61], v[96:97], -v[60:61]
	v_add_f64 v[98:99], v[62:63], -v[98:99]
	v_fma_f64 v[88:89], v[144:145], s[8:9], v[30:31]
	v_fma_f64 v[70:71], v[86:87], s[8:9], v[84:85]
	v_add_f64 v[102:103], v[48:49], v[80:81]
	v_fma_f64 v[100:101], v[38:39], s[10:11], v[100:101]
	v_fma_f64 v[104:105], v[34:35], s[10:11], v[42:43]
	;; [unrolled: 1-line block ×4, first 2 shown]
	v_fma_f64 v[78:79], v[78:79], 2.0, -v[66:67]
	v_fma_f64 v[96:97], v[96:97], 2.0, -v[60:61]
	;; [unrolled: 1-line block ×4, first 2 shown]
	v_add_f64 v[106:107], v[98:99], v[60:61]
	s_mov_b32 s16, s14
	v_fma_f64 v[50:51], v[76:77], s[12:13], v[88:89]
	v_fma_f64 v[34:35], v[102:103], s[10:11], v[70:71]
	;; [unrolled: 1-line block ×5, first 2 shown]
	v_add_f64 v[64:65], v[78:79], -v[96:97]
	v_add_f64 v[70:71], v[28:29], -v[32:33]
	v_fma_f64 v[62:63], v[62:63], 2.0, -v[98:99]
	v_fma_f64 v[24:25], v[40:41], 2.0, -v[24:25]
	;; [unrolled: 1-line block ×4, first 2 shown]
	v_fma_f64 v[40:41], v[102:103], s[8:9], v[106:107]
	s_mov_b32 s19, 0xbfed906b
	s_mov_b32 s18, s12
	v_fma_f64 v[38:39], v[60:61], s[18:19], v[46:47]
	v_fma_f64 v[48:49], v[60:61], s[16:17], v[92:93]
	v_add_f64 v[42:43], v[64:65], -v[70:71]
	v_add_f64 v[96:97], v[62:63], -v[24:25]
	;; [unrolled: 1-line block ×3, first 2 shown]
	v_fma_f64 v[108:109], v[146:147], 2.0, -v[36:37]
	v_fma_f64 v[110:111], v[54:55], 2.0, -v[52:53]
	v_fma_f64 v[24:25], v[52:53], s[16:17], v[50:51]
	v_fma_f64 v[46:47], v[84:85], 2.0, -v[34:35]
	v_fma_f64 v[32:33], v[86:87], s[8:9], v[40:41]
	v_fma_f64 v[52:53], v[66:67], 2.0, -v[84:85]
	v_fma_f64 v[44:45], v[44:45], 2.0, -v[86:87]
	v_fma_f64 v[84:85], v[90:91], 2.0, -v[100:101]
	v_fma_f64 v[86:87], v[94:95], 2.0, -v[104:105]
	v_fma_f64 v[66:67], v[68:69], 2.0, -v[76:77]
	v_fma_f64 v[56:57], v[56:57], 2.0, -v[60:61]
	v_fma_f64 v[76:77], v[58:59], 2.0, -v[92:93]
	v_fma_f64 v[68:69], v[80:81], 2.0, -v[102:103]
	v_fma_f64 v[90:91], v[98:99], 2.0, -v[106:107]
	v_fma_f64 v[72:73], v[72:73], 2.0, -v[88:89]
	v_fma_f64 v[30:31], v[36:37], 2.0, -v[26:27]
	v_fma_f64 v[36:37], v[104:105], s[12:13], v[48:49]
	v_fma_f64 v[54:55], v[64:65], 2.0, -v[42:43]
	v_fma_f64 v[48:49], v[110:111], s[14:15], v[108:109]
	v_fma_f64 v[60:61], v[44:45], s[10:11], v[52:53]
	;; [unrolled: 1-line block ×3, first 2 shown]
	v_fma_f64 v[94:95], v[78:79], 2.0, -v[64:65]
	v_fma_f64 v[64:65], v[82:83], 2.0, -v[74:75]
	;; [unrolled: 1-line block ×4, first 2 shown]
	v_add_f64 v[40:41], v[96:97], v[74:75]
	v_fma_f64 v[74:75], v[56:57], s[18:19], v[76:77]
	v_fma_f64 v[78:79], v[68:69], s[10:11], v[90:91]
	;; [unrolled: 1-line block ×6, first 2 shown]
	v_add_f64 v[70:71], v[94:95], -v[64:65]
	v_add_f64 v[68:69], v[98:99], -v[28:29]
	v_fma_f64 v[64:65], v[86:87], s[16:17], v[74:75]
	v_fma_f64 v[60:61], v[44:45], s[8:9], v[78:79]
	;; [unrolled: 1-line block ×3, first 2 shown]
	v_fma_f64 v[74:75], v[108:109], 2.0, -v[58:59]
	v_fma_f64 v[78:79], v[52:53], 2.0, -v[62:63]
	;; [unrolled: 1-line block ×13, first 2 shown]
	ds_write_b128 v153, v[84:87]
	ds_write_b128 v153, v[80:83] offset:96
	ds_write_b128 v153, v[76:79] offset:192
	ds_write_b128 v153, v[72:75] offset:288
	ds_write_b128 v153, v[52:55] offset:384
	ds_write_b128 v152, v[48:51] offset:480
	ds_write_b128 v152, v[44:47] offset:576
	ds_write_b128 v152, v[28:31] offset:672
	ds_write_b128 v149, v[68:71] offset:768
	ds_write_b128 v152, v[64:67] offset:864
	ds_write_b128 v152, v[60:63] offset:960
	ds_write_b128 v152, v[56:59] offset:1056
	ds_write_b128 v152, v[40:43] offset:1152
	ds_write_b128 v152, v[36:39] offset:1248
	ds_write_b128 v152, v[32:35] offset:1344
	ds_write_b128 v152, v[24:27] offset:1440
.LBB0_9:
	s_or_b64 exec, exec, s[6:7]
	s_waitcnt lgkmcnt(0)
	s_barrier
	ds_read_b128 v[24:27], v153
	ds_read_b128 v[28:31], v153 offset:256
	v_mad_u64_u32 v[32:33], s[6:7], s2, v148, 0
	s_waitcnt lgkmcnt(1)
	v_mul_f64 v[34:35], v[22:23], v[26:27]
	v_mul_f64 v[22:23], v[22:23], v[24:25]
	v_mad_u64_u32 v[36:37], s[2:3], s3, v148, v[33:34]
	v_mad_u64_u32 v[37:38], s[2:3], s0, v151, 0
	v_fma_f64 v[24:25], v[20:21], v[24:25], v[34:35]
	v_fma_f64 v[22:23], v[20:21], v[26:27], -v[22:23]
	v_mov_b32_e32 v20, v38
	v_mad_u64_u32 v[26:27], s[2:3], s1, v151, v[20:21]
	s_mov_b32 s2, 0x55555555
	s_mov_b32 s3, 0x3f855555
	v_mov_b32_e32 v38, v26
	s_waitcnt lgkmcnt(0)
	v_mul_f64 v[26:27], v[18:19], v[30:31]
	v_mul_f64 v[18:19], v[18:19], v[28:29]
	v_mov_b32_e32 v33, v36
	v_mul_f64 v[20:21], v[24:25], s[2:3]
	v_mul_f64 v[22:23], v[22:23], s[2:3]
	v_lshlrev_b64 v[24:25], 4, v[32:33]
	v_mov_b32_e32 v32, s5
	v_add_co_u32_e32 v33, vcc, s4, v24
	v_fma_f64 v[28:29], v[16:17], v[28:29], v[26:27]
	v_fma_f64 v[30:31], v[16:17], v[30:31], -v[18:19]
	ds_read_b128 v[16:19], v152 offset:512
	v_addc_co_u32_e32 v34, vcc, v32, v25, vcc
	v_lshlrev_b64 v[24:25], 4, v[37:38]
	s_lshl_b64 s[0:1], s[0:1], 8
	v_add_co_u32_e32 v32, vcc, v33, v24
	v_addc_co_u32_e32 v33, vcc, v34, v25, vcc
	global_store_dwordx4 v[32:33], v[20:23], off
	ds_read_b128 v[24:27], v152 offset:1024
	v_mul_f64 v[20:21], v[28:29], s[2:3]
	v_mul_f64 v[22:23], v[30:31], s[2:3]
	ds_read_b128 v[28:31], v149 offset:768
	s_waitcnt lgkmcnt(2)
	v_mul_f64 v[34:35], v[6:7], v[18:19]
	v_mul_f64 v[6:7], v[6:7], v[16:17]
	v_mov_b32_e32 v36, s1
	v_add_co_u32_e32 v32, vcc, s0, v32
	v_addc_co_u32_e32 v33, vcc, v33, v36, vcc
	global_store_dwordx4 v[32:33], v[20:23], off
	v_fma_f64 v[16:17], v[4:5], v[16:17], v[34:35]
	v_fma_f64 v[18:19], v[4:5], v[18:19], -v[6:7]
	ds_read_b128 v[4:7], v152 offset:1280
	s_waitcnt lgkmcnt(1)
	v_mul_f64 v[34:35], v[2:3], v[30:31]
	v_mul_f64 v[2:3], v[2:3], v[28:29]
	;; [unrolled: 1-line block ×6, first 2 shown]
	v_fma_f64 v[20:21], v[0:1], v[28:29], v[34:35]
	v_fma_f64 v[2:3], v[0:1], v[30:31], -v[2:3]
	s_waitcnt lgkmcnt(0)
	v_mul_f64 v[28:29], v[14:15], v[6:7]
	v_mul_f64 v[14:15], v[14:15], v[4:5]
	v_add_co_u32_e32 v30, vcc, s0, v32
	v_addc_co_u32_e32 v31, vcc, v33, v36, vcc
	global_store_dwordx4 v[30:31], v[16:19], off
	v_mul_f64 v[0:1], v[20:21], s[2:3]
	v_fma_f64 v[16:17], v[8:9], v[24:25], v[22:23]
	v_fma_f64 v[8:9], v[8:9], v[26:27], -v[10:11]
	v_mul_f64 v[2:3], v[2:3], s[2:3]
	v_fma_f64 v[10:11], v[12:13], v[4:5], v[28:29]
	v_fma_f64 v[12:13], v[12:13], v[6:7], -v[14:15]
	v_add_co_u32_e32 v14, vcc, s0, v30
	v_addc_co_u32_e32 v15, vcc, v31, v36, vcc
	v_mul_f64 v[4:5], v[16:17], s[2:3]
	v_mul_f64 v[6:7], v[8:9], s[2:3]
	global_store_dwordx4 v[14:15], v[0:3], off
	v_add_co_u32_e32 v8, vcc, s0, v14
	v_mul_f64 v[0:1], v[10:11], s[2:3]
	v_mul_f64 v[2:3], v[12:13], s[2:3]
	v_addc_co_u32_e32 v9, vcc, v15, v36, vcc
	global_store_dwordx4 v[8:9], v[4:7], off
	s_nop 0
	v_add_co_u32_e32 v4, vcc, s0, v8
	v_addc_co_u32_e32 v5, vcc, v9, v36, vcc
	global_store_dwordx4 v[4:5], v[0:3], off
.LBB0_10:
	s_endpgm
	.section	.rodata,"a",@progbits
	.p2align	6, 0x0
	.amdhsa_kernel bluestein_single_fwd_len96_dim1_dp_op_CI_CI
		.amdhsa_group_segment_fixed_size 12288
		.amdhsa_private_segment_fixed_size 0
		.amdhsa_kernarg_size 104
		.amdhsa_user_sgpr_count 6
		.amdhsa_user_sgpr_private_segment_buffer 1
		.amdhsa_user_sgpr_dispatch_ptr 0
		.amdhsa_user_sgpr_queue_ptr 0
		.amdhsa_user_sgpr_kernarg_segment_ptr 1
		.amdhsa_user_sgpr_dispatch_id 0
		.amdhsa_user_sgpr_flat_scratch_init 0
		.amdhsa_user_sgpr_private_segment_size 0
		.amdhsa_uses_dynamic_stack 0
		.amdhsa_system_sgpr_private_segment_wavefront_offset 0
		.amdhsa_system_sgpr_workgroup_id_x 1
		.amdhsa_system_sgpr_workgroup_id_y 0
		.amdhsa_system_sgpr_workgroup_id_z 0
		.amdhsa_system_sgpr_workgroup_info 0
		.amdhsa_system_vgpr_workitem_id 0
		.amdhsa_next_free_vgpr 217
		.amdhsa_next_free_sgpr 20
		.amdhsa_reserve_vcc 1
		.amdhsa_reserve_flat_scratch 0
		.amdhsa_float_round_mode_32 0
		.amdhsa_float_round_mode_16_64 0
		.amdhsa_float_denorm_mode_32 3
		.amdhsa_float_denorm_mode_16_64 3
		.amdhsa_dx10_clamp 1
		.amdhsa_ieee_mode 1
		.amdhsa_fp16_overflow 0
		.amdhsa_exception_fp_ieee_invalid_op 0
		.amdhsa_exception_fp_denorm_src 0
		.amdhsa_exception_fp_ieee_div_zero 0
		.amdhsa_exception_fp_ieee_overflow 0
		.amdhsa_exception_fp_ieee_underflow 0
		.amdhsa_exception_fp_ieee_inexact 0
		.amdhsa_exception_int_div_zero 0
	.end_amdhsa_kernel
	.text
.Lfunc_end0:
	.size	bluestein_single_fwd_len96_dim1_dp_op_CI_CI, .Lfunc_end0-bluestein_single_fwd_len96_dim1_dp_op_CI_CI
                                        ; -- End function
	.section	.AMDGPU.csdata,"",@progbits
; Kernel info:
; codeLenInByte = 6920
; NumSgprs: 24
; NumVgprs: 217
; ScratchSize: 0
; MemoryBound: 0
; FloatMode: 240
; IeeeMode: 1
; LDSByteSize: 12288 bytes/workgroup (compile time only)
; SGPRBlocks: 2
; VGPRBlocks: 54
; NumSGPRsForWavesPerEU: 24
; NumVGPRsForWavesPerEU: 217
; Occupancy: 1
; WaveLimiterHint : 1
; COMPUTE_PGM_RSRC2:SCRATCH_EN: 0
; COMPUTE_PGM_RSRC2:USER_SGPR: 6
; COMPUTE_PGM_RSRC2:TRAP_HANDLER: 0
; COMPUTE_PGM_RSRC2:TGID_X_EN: 1
; COMPUTE_PGM_RSRC2:TGID_Y_EN: 0
; COMPUTE_PGM_RSRC2:TGID_Z_EN: 0
; COMPUTE_PGM_RSRC2:TIDIG_COMP_CNT: 0
	.type	__hip_cuid_7fe60f949fc5785f,@object ; @__hip_cuid_7fe60f949fc5785f
	.section	.bss,"aw",@nobits
	.globl	__hip_cuid_7fe60f949fc5785f
__hip_cuid_7fe60f949fc5785f:
	.byte	0                               ; 0x0
	.size	__hip_cuid_7fe60f949fc5785f, 1

	.ident	"AMD clang version 19.0.0git (https://github.com/RadeonOpenCompute/llvm-project roc-6.4.0 25133 c7fe45cf4b819c5991fe208aaa96edf142730f1d)"
	.section	".note.GNU-stack","",@progbits
	.addrsig
	.addrsig_sym __hip_cuid_7fe60f949fc5785f
	.amdgpu_metadata
---
amdhsa.kernels:
  - .args:
      - .actual_access:  read_only
        .address_space:  global
        .offset:         0
        .size:           8
        .value_kind:     global_buffer
      - .actual_access:  read_only
        .address_space:  global
        .offset:         8
        .size:           8
        .value_kind:     global_buffer
      - .actual_access:  read_only
        .address_space:  global
        .offset:         16
        .size:           8
        .value_kind:     global_buffer
      - .actual_access:  read_only
        .address_space:  global
        .offset:         24
        .size:           8
        .value_kind:     global_buffer
      - .actual_access:  read_only
        .address_space:  global
        .offset:         32
        .size:           8
        .value_kind:     global_buffer
      - .offset:         40
        .size:           8
        .value_kind:     by_value
      - .address_space:  global
        .offset:         48
        .size:           8
        .value_kind:     global_buffer
      - .address_space:  global
        .offset:         56
        .size:           8
        .value_kind:     global_buffer
      - .address_space:  global
        .offset:         64
        .size:           8
        .value_kind:     global_buffer
      - .address_space:  global
        .offset:         72
        .size:           8
        .value_kind:     global_buffer
      - .offset:         80
        .size:           4
        .value_kind:     by_value
      - .address_space:  global
        .offset:         88
        .size:           8
        .value_kind:     global_buffer
      - .address_space:  global
        .offset:         96
        .size:           8
        .value_kind:     global_buffer
    .group_segment_fixed_size: 12288
    .kernarg_segment_align: 8
    .kernarg_segment_size: 104
    .language:       OpenCL C
    .language_version:
      - 2
      - 0
    .max_flat_workgroup_size: 128
    .name:           bluestein_single_fwd_len96_dim1_dp_op_CI_CI
    .private_segment_fixed_size: 0
    .sgpr_count:     24
    .sgpr_spill_count: 0
    .symbol:         bluestein_single_fwd_len96_dim1_dp_op_CI_CI.kd
    .uniform_work_group_size: 1
    .uses_dynamic_stack: false
    .vgpr_count:     217
    .vgpr_spill_count: 0
    .wavefront_size: 64
amdhsa.target:   amdgcn-amd-amdhsa--gfx906
amdhsa.version:
  - 1
  - 2
...

	.end_amdgpu_metadata
